;; amdgpu-corpus repo=ROCm/rocFFT kind=compiled arch=gfx1030 opt=O3
	.text
	.amdgcn_target "amdgcn-amd-amdhsa--gfx1030"
	.amdhsa_code_object_version 6
	.protected	bluestein_single_back_len640_dim1_dp_op_CI_CI ; -- Begin function bluestein_single_back_len640_dim1_dp_op_CI_CI
	.globl	bluestein_single_back_len640_dim1_dp_op_CI_CI
	.p2align	8
	.type	bluestein_single_back_len640_dim1_dp_op_CI_CI,@function
bluestein_single_back_len640_dim1_dp_op_CI_CI: ; @bluestein_single_back_len640_dim1_dp_op_CI_CI
; %bb.0:
	s_load_dwordx4 s[12:15], s[4:5], 0x28
	v_lshrrev_b32_e32 v1, 6, v0
	v_mov_b32_e32 v142, 0
	s_mov_b32 s0, exec_lo
	v_lshl_or_b32 v193, s6, 1, v1
	v_mov_b32_e32 v194, v142
	s_waitcnt lgkmcnt(0)
	v_cmpx_gt_u64_e64 s[12:13], v[193:194]
	s_cbranch_execz .LBB0_23
; %bb.1:
	s_load_dwordx4 s[8:11], s[4:5], 0x18
	v_and_b32_e32 v198, 63, v0
	v_and_b32_e32 v0, 64, v0
	s_waitcnt lgkmcnt(0)
	s_load_dwordx4 s[0:3], s[8:9], 0x0
	s_load_dwordx2 s[6:7], s[4:5], 0x0
	v_or_b32_e32 v1, 0x140, v198
	v_lshlrev_b32_e32 v167, 4, v198
	v_or_b32_e32 v141, 64, v198
	s_waitcnt lgkmcnt(0)
	s_clause 0x1
	global_load_dwordx4 v[9:12], v167, s[6:7]
	global_load_dwordx4 v[5:8], v167, s[6:7] offset:1280
	v_mad_u64_u32 v[13:14], null, s2, v193, 0
	v_mad_u64_u32 v[15:16], null, s0, v198, 0
	v_lshlrev_b32_e32 v166, 4, v1
	v_add_co_u32 v194, s2, s6, v167
	v_add_co_ci_u32_e64 v195, null, s7, 0, s2
	v_mov_b32_e32 v1, v14
	v_mov_b32_e32 v14, v16
	v_add_co_u32 v196, vcc_lo, 0x800, v194
	v_add_co_ci_u32_e32 v197, vcc_lo, 0, v195, vcc_lo
	v_mad_u64_u32 v[16:17], null, s3, v193, v[1:2]
	v_mad_u64_u32 v[17:18], null, s1, v198, v[14:15]
	v_add_co_u32 v191, vcc_lo, 0x1800, v194
	v_add_co_ci_u32_e32 v192, vcc_lo, 0, v195, vcc_lo
	v_mov_b32_e32 v14, v16
	s_mul_i32 s3, s1, 0x50
	v_mov_b32_e32 v16, v17
	s_mul_hi_u32 s8, s0, 0x50
	s_mul_i32 s2, s0, 0x50
	v_lshlrev_b64 v[13:14], 4, v[13:14]
	s_add_i32 s3, s8, s3
	v_lshlrev_b64 v[15:16], 4, v[15:16]
	s_lshl_b64 s[12:13], s[2:3], 4
	global_load_dwordx4 v[1:4], v166, s[6:7]
	v_add_co_u32 v13, vcc_lo, s14, v13
	v_add_co_ci_u32_e32 v14, vcc_lo, s15, v14, vcc_lo
	v_add_co_u32 v21, vcc_lo, v13, v15
	v_add_co_ci_u32_e32 v22, vcc_lo, v14, v16, vcc_lo
	s_clause 0x1
	global_load_dwordx4 v[17:20], v[196:197], off offset:512
	global_load_dwordx4 v[13:16], v[196:197], off offset:1792
	v_add_co_u32 v23, vcc_lo, v21, s12
	v_add_co_ci_u32_e32 v24, vcc_lo, s13, v22, vcc_lo
	v_add_co_u32 v189, vcc_lo, 0x2000, v194
	v_add_co_ci_u32_e32 v190, vcc_lo, 0, v195, vcc_lo
	;; [unrolled: 2-line block ×3, first 2 shown]
	global_load_dwordx4 v[35:38], v[21:22], off
	v_add_co_u32 v27, vcc_lo, v25, s12
	v_add_co_ci_u32_e32 v28, vcc_lo, s13, v26, vcc_lo
	s_clause 0x1
	global_load_dwordx4 v[39:42], v[23:24], off
	global_load_dwordx4 v[43:46], v[25:26], off
	v_add_co_u32 v21, vcc_lo, v27, s12
	v_add_co_ci_u32_e32 v22, vcc_lo, s13, v28, vcc_lo
	s_clause 0x1
	global_load_dwordx4 v[47:50], v[27:28], off
	global_load_dwordx4 v[51:54], v[21:22], off
	v_add_co_u32 v23, vcc_lo, v21, s12
	v_add_co_ci_u32_e32 v24, vcc_lo, s13, v22, vcc_lo
	v_add_co_u32 v29, vcc_lo, v23, s12
	v_add_co_ci_u32_e32 v30, vcc_lo, s13, v24, vcc_lo
	global_load_dwordx4 v[55:58], v[23:24], off
	v_add_co_u32 v33, vcc_lo, v29, s12
	v_add_co_ci_u32_e32 v34, vcc_lo, s13, v30, vcc_lo
	s_clause 0x1
	global_load_dwordx4 v[25:28], v[191:192], off offset:256
	global_load_dwordx4 v[21:24], v[191:192], off offset:1536
	global_load_dwordx4 v[59:62], v[29:30], off
	global_load_dwordx4 v[29:32], v[189:190], off offset:768
	global_load_dwordx4 v[63:66], v[33:34], off
	v_cmp_ne_u32_e32 vcc_lo, 0, v0
	s_load_dwordx2 s[2:3], s[4:5], 0x38
	s_load_dwordx4 s[8:11], s[10:11], 0x0
	v_cndmask_b32_e64 v200, 0, 0x280, vcc_lo
	v_cmp_gt_u64_e32 vcc_lo, 0x50, v[141:142]
	v_or_b32_e32 v0, v200, v198
	v_lshl_or_b32 v199, v200, 4, v167
	v_lshlrev_b32_e32 v0, 4, v0
	s_waitcnt vmcnt(10)
	v_mul_f64 v[67:68], v[37:38], v[11:12]
	v_mul_f64 v[69:70], v[35:36], v[11:12]
	s_waitcnt vmcnt(9)
	v_mul_f64 v[71:72], v[41:42], v[7:8]
	v_mul_f64 v[73:74], v[39:40], v[7:8]
	;; [unrolled: 3-line block ×5, first 2 shown]
	v_fma_f64 v[35:36], v[35:36], v[9:10], v[67:68]
	s_waitcnt vmcnt(4)
	v_mul_f64 v[87:88], v[57:58], v[27:28]
	v_mul_f64 v[89:90], v[55:56], v[27:28]
	s_waitcnt vmcnt(2)
	v_mul_f64 v[91:92], v[61:62], v[23:24]
	v_mul_f64 v[93:94], v[59:60], v[23:24]
	;; [unrolled: 3-line block ×3, first 2 shown]
	v_fma_f64 v[37:38], v[37:38], v[9:10], -v[69:70]
	v_fma_f64 v[39:40], v[39:40], v[5:6], v[71:72]
	v_fma_f64 v[41:42], v[41:42], v[5:6], -v[73:74]
	v_fma_f64 v[43:44], v[43:44], v[17:18], v[75:76]
	v_fma_f64 v[47:48], v[47:48], v[13:14], v[79:80]
	v_fma_f64 v[49:50], v[49:50], v[13:14], -v[81:82]
	v_fma_f64 v[51:52], v[51:52], v[1:2], v[83:84]
	v_fma_f64 v[53:54], v[53:54], v[1:2], -v[85:86]
	v_fma_f64 v[45:46], v[45:46], v[17:18], -v[77:78]
	ds_write_b128 v0, v[35:38]
	ds_write_b128 v199, v[39:42] offset:1280
	ds_write_b128 v199, v[43:46] offset:2560
	v_fma_f64 v[55:56], v[55:56], v[25:26], v[87:88]
	v_fma_f64 v[57:58], v[57:58], v[25:26], -v[89:90]
	v_fma_f64 v[59:60], v[59:60], v[21:22], v[91:92]
	v_fma_f64 v[61:62], v[61:62], v[21:22], -v[93:94]
	;; [unrolled: 2-line block ×3, first 2 shown]
	ds_write_b128 v199, v[47:50] offset:3840
	ds_write_b128 v199, v[51:54] offset:5120
	;; [unrolled: 1-line block ×5, first 2 shown]
	s_and_saveexec_b32 s14, vcc_lo
	s_cbranch_execz .LBB0_3
; %bb.2:
	v_mad_u64_u32 v[49:50], null, 0xffffe100, s0, v[33:34]
	s_mulk_i32 s1, 0xe100
	v_lshl_or_b32 v71, v198, 4, 0x1800
	s_sub_i32 s0, s1, s0
	s_clause 0x2
	global_load_dwordx4 v[33:36], v[194:195], off offset:1024
	global_load_dwordx4 v[37:40], v[196:197], off offset:256
	;; [unrolled: 1-line block ×3, first 2 shown]
	v_add_nc_u32_e32 v50, s0, v50
	v_add_co_u32 v53, s0, v49, s12
	v_add_co_ci_u32_e64 v54, s0, s13, v50, s0
	v_add_co_u32 v57, s0, v53, s12
	v_add_co_ci_u32_e64 v58, s0, s13, v54, s0
	;; [unrolled: 2-line block ×4, first 2 shown]
	global_load_dwordx4 v[45:48], v[45:46], off offset:768
	v_add_co_u32 v69, s0, v61, s12
	v_add_co_ci_u32_e64 v70, s0, s13, v62, s0
	global_load_dwordx4 v[49:52], v[49:50], off
	global_load_dwordx4 v[53:56], v[53:54], off
	;; [unrolled: 1-line block ×5, first 2 shown]
	v_add_co_u32 v73, s0, v69, s12
	v_add_co_ci_u32_e64 v74, s0, s13, v70, s0
	global_load_dwordx4 v[69:72], v71, s[6:7]
	v_add_co_u32 v81, s0, v73, s12
	v_add_co_ci_u32_e64 v82, s0, s13, v74, s0
	global_load_dwordx4 v[73:76], v[73:74], off
	v_add_co_u32 v93, s0, v81, s12
	v_add_co_ci_u32_e64 v94, s0, s13, v82, s0
	global_load_dwordx4 v[77:80], v[191:192], off offset:1280
	global_load_dwordx4 v[81:84], v[81:82], off
	s_clause 0x1
	global_load_dwordx4 v[85:88], v[189:190], off offset:512
	global_load_dwordx4 v[89:92], v[189:190], off offset:1792
	global_load_dwordx4 v[93:96], v[93:94], off
	s_waitcnt vmcnt(11)
	v_mul_f64 v[97:98], v[51:52], v[35:36]
	v_mul_f64 v[35:36], v[49:50], v[35:36]
	s_waitcnt vmcnt(10)
	v_mul_f64 v[99:100], v[55:56], v[39:40]
	v_mul_f64 v[39:40], v[53:54], v[39:40]
	;; [unrolled: 3-line block ×8, first 2 shown]
	v_fma_f64 v[47:48], v[49:50], v[33:34], v[97:98]
	v_fma_f64 v[49:50], v[51:52], v[33:34], -v[35:36]
	v_fma_f64 v[33:34], v[53:54], v[37:38], v[99:100]
	v_fma_f64 v[35:36], v[55:56], v[37:38], -v[39:40]
	;; [unrolled: 2-line block ×8, first 2 shown]
	ds_write_b128 v199, v[47:50] offset:1024
	ds_write_b128 v199, v[33:36] offset:2304
	;; [unrolled: 1-line block ×8, first 2 shown]
.LBB0_3:
	s_or_b32 exec_lo, exec_lo, s14
	s_waitcnt lgkmcnt(0)
	s_barrier
	buffer_gl0_inv
	ds_read_b128 v[45:48], v0
	ds_read_b128 v[37:40], v199 offset:1280
	ds_read_b128 v[49:52], v199 offset:2560
	;; [unrolled: 1-line block ×7, first 2 shown]
                                        ; implicit-def: $vgpr41_vgpr42
                                        ; implicit-def: $vgpr57_vgpr58
                                        ; implicit-def: $vgpr65_vgpr66
                                        ; implicit-def: $vgpr77_vgpr78
                                        ; implicit-def: $vgpr73_vgpr74
                                        ; implicit-def: $vgpr69_vgpr70
                                        ; implicit-def: $vgpr61_vgpr62
                                        ; implicit-def: $vgpr53_vgpr54
	s_and_saveexec_b32 s0, vcc_lo
	s_cbranch_execz .LBB0_5
; %bb.4:
	ds_read_b128 v[41:44], v199 offset:1024
	ds_read_b128 v[53:56], v199 offset:2304
	ds_read_b128 v[57:60], v199 offset:3584
	ds_read_b128 v[61:64], v199 offset:4864
	ds_read_b128 v[69:72], v199 offset:6144
	ds_read_b128 v[65:68], v199 offset:7424
	ds_read_b128 v[73:76], v199 offset:8704
	ds_read_b128 v[77:80], v199 offset:9984
.LBB0_5:
	s_or_b32 exec_lo, exec_lo, s0
	s_waitcnt lgkmcnt(3)
	v_add_f64 v[93:94], v[45:46], -v[93:94]
	v_add_f64 v[95:96], v[47:48], -v[95:96]
	s_waitcnt lgkmcnt(1)
	v_add_f64 v[89:90], v[49:50], -v[89:90]
	v_add_f64 v[91:92], v[51:52], -v[91:92]
	;; [unrolled: 1-line block ×4, first 2 shown]
	s_waitcnt lgkmcnt(0)
	v_add_f64 v[81:82], v[33:34], -v[81:82]
	v_add_f64 v[83:84], v[35:36], -v[83:84]
	;; [unrolled: 1-line block ×10, first 2 shown]
	s_mov_b32 s0, 0x667f3bcd
	s_mov_b32 s1, 0xbfe6a09e
	s_mov_b32 s13, 0x3fe6a09e
	s_mov_b32 s12, s0
	v_lshlrev_b32_e32 v202, 3, v141
	v_fma_f64 v[45:46], v[45:46], 2.0, -v[93:94]
	v_fma_f64 v[47:48], v[47:48], 2.0, -v[95:96]
	;; [unrolled: 1-line block ×8, first 2 shown]
	v_add_f64 v[91:92], v[93:94], -v[91:92]
	v_add_f64 v[89:90], v[95:96], v[89:90]
	v_add_f64 v[83:84], v[85:86], -v[83:84]
	v_add_f64 v[81:82], v[87:88], v[81:82]
	v_fma_f64 v[97:98], v[41:42], 2.0, -v[69:70]
	v_fma_f64 v[99:100], v[43:44], 2.0, -v[71:72]
	v_fma_f64 v[41:42], v[57:58], 2.0, -v[73:74]
	v_fma_f64 v[43:44], v[59:60], 2.0, -v[75:76]
	v_fma_f64 v[53:54], v[53:54], 2.0, -v[65:66]
	v_fma_f64 v[55:56], v[55:56], 2.0, -v[67:68]
	v_fma_f64 v[57:58], v[61:62], 2.0, -v[77:78]
	v_fma_f64 v[59:60], v[63:64], 2.0, -v[79:80]
	v_add_f64 v[75:76], v[69:70], -v[75:76]
	v_add_f64 v[73:74], v[73:74], v[71:72]
	v_add_f64 v[61:62], v[65:66], -v[79:80]
	v_add_f64 v[63:64], v[77:78], v[67:68]
	v_add_f64 v[77:78], v[45:46], -v[49:50]
	v_add_f64 v[79:80], v[47:48], -v[51:52]
	s_barrier
	buffer_gl0_inv
	v_add_f64 v[49:50], v[37:38], -v[33:34]
	v_add_f64 v[51:52], v[39:40], -v[35:36]
	v_fma_f64 v[93:94], v[93:94], 2.0, -v[91:92]
	v_fma_f64 v[95:96], v[95:96], 2.0, -v[89:90]
	;; [unrolled: 1-line block ×4, first 2 shown]
	v_fma_f64 v[101:102], v[83:84], s[12:13], v[91:92]
	v_fma_f64 v[103:104], v[81:82], s[12:13], v[89:90]
	v_add_f64 v[105:106], v[97:98], -v[41:42]
	v_add_f64 v[107:108], v[99:100], -v[43:44]
	;; [unrolled: 1-line block ×4, first 2 shown]
	v_fma_f64 v[33:34], v[69:70], 2.0, -v[75:76]
	v_fma_f64 v[35:36], v[71:72], 2.0, -v[73:74]
	;; [unrolled: 1-line block ×4, first 2 shown]
	v_fma_f64 v[117:118], v[61:62], s[12:13], v[75:76]
	v_fma_f64 v[119:120], v[63:64], s[12:13], v[73:74]
	v_fma_f64 v[69:70], v[45:46], 2.0, -v[77:78]
	v_fma_f64 v[71:72], v[47:48], 2.0, -v[79:80]
	v_fma_f64 v[109:110], v[37:38], 2.0, -v[49:50]
	v_fma_f64 v[111:112], v[39:40], 2.0, -v[51:52]
	v_add_f64 v[41:42], v[77:78], -v[51:52]
	v_add_f64 v[43:44], v[79:80], v[49:50]
	v_fma_f64 v[113:114], v[85:86], s[0:1], v[93:94]
	v_fma_f64 v[115:116], v[87:88], s[0:1], v[95:96]
	;; [unrolled: 1-line block ×4, first 2 shown]
	v_fma_f64 v[37:38], v[97:98], 2.0, -v[105:106]
	v_fma_f64 v[39:40], v[99:100], 2.0, -v[107:108]
	;; [unrolled: 1-line block ×4, first 2 shown]
	v_add_f64 v[129:130], v[105:106], -v[59:60]
	v_add_f64 v[131:132], v[107:108], v[57:58]
	v_fma_f64 v[97:98], v[65:66], s[0:1], v[33:34]
	v_fma_f64 v[99:100], v[67:68], s[0:1], v[35:36]
	;; [unrolled: 1-line block ×4, first 2 shown]
	v_add_f64 v[49:50], v[69:70], -v[109:110]
	v_add_f64 v[51:52], v[71:72], -v[111:112]
	v_fma_f64 v[57:58], v[77:78], 2.0, -v[41:42]
	v_fma_f64 v[59:60], v[79:80], 2.0, -v[43:44]
	v_fma_f64 v[53:54], v[87:88], s[0:1], v[113:114]
	v_fma_f64 v[55:56], v[85:86], s[12:13], v[115:116]
	v_fma_f64 v[61:62], v[91:92], 2.0, -v[45:46]
	v_fma_f64 v[63:64], v[89:90], 2.0, -v[47:48]
	v_add_f64 v[117:118], v[37:38], -v[81:82]
	v_add_f64 v[119:120], v[39:40], -v[83:84]
	v_fma_f64 v[81:82], v[105:106], 2.0, -v[129:130]
	v_fma_f64 v[83:84], v[107:108], 2.0, -v[131:132]
	v_fma_f64 v[113:114], v[67:68], s[0:1], v[97:98]
	v_fma_f64 v[115:116], v[65:66], s[12:13], v[99:100]
	v_fma_f64 v[101:102], v[75:76], 2.0, -v[125:126]
	v_fma_f64 v[103:104], v[73:74], 2.0, -v[127:128]
	s_load_dwordx2 s[0:1], s[4:5], 0x8
	v_lshlrev_b32_e32 v73, 3, v198
	v_fma_f64 v[65:66], v[69:70], 2.0, -v[49:50]
	v_fma_f64 v[67:68], v[71:72], 2.0, -v[51:52]
	;; [unrolled: 1-line block ×4, first 2 shown]
	v_add_lshl_u32 v201, v200, v73, 4
	ds_write_b128 v201, v[41:44] offset:96
	ds_write_b128 v201, v[57:60] offset:32
	;; [unrolled: 1-line block ×5, first 2 shown]
	ds_write_b128 v201, v[65:68]
	ds_write_b128 v201, v[69:72] offset:16
	ds_write_b128 v201, v[45:48] offset:112
	s_and_saveexec_b32 s4, vcc_lo
	s_cbranch_execz .LBB0_7
; %bb.6:
	v_fma_f64 v[39:40], v[39:40], 2.0, -v[119:120]
	v_fma_f64 v[37:38], v[37:38], 2.0, -v[117:118]
	;; [unrolled: 1-line block ×4, first 2 shown]
	v_add_lshl_u32 v41, v200, v202, 4
	ds_write_b128 v41, v[81:84] offset:32
	ds_write_b128 v41, v[101:104] offset:48
	;; [unrolled: 1-line block ×5, first 2 shown]
	ds_write_b128 v41, v[37:40]
	ds_write_b128 v41, v[33:36] offset:16
	ds_write_b128 v41, v[125:128] offset:112
.LBB0_7:
	s_or_b32 exec_lo, exec_lo, s4
	v_and_b32_e32 v53, 7, v198
	s_waitcnt lgkmcnt(0)
	s_barrier
	buffer_gl0_inv
	s_mov_b32 s4, 0x134454ff
	v_mad_u64_u32 v[54:55], null, 0x90, v53, s[0:1]
	s_mov_b32 s5, 0x3fee6f0e
	s_mov_b32 s17, 0xbfee6f0e
	;; [unrolled: 1-line block ×6, first 2 shown]
	s_clause 0x8
	global_load_dwordx4 v[37:40], v[54:55], off offset:32
	global_load_dwordx4 v[45:48], v[54:55], off offset:64
	;; [unrolled: 1-line block ×4, first 2 shown]
	global_load_dwordx4 v[33:36], v[54:55], off
	global_load_dwordx4 v[77:80], v[54:55], off offset:16
	global_load_dwordx4 v[73:76], v[54:55], off offset:48
	;; [unrolled: 1-line block ×4, first 2 shown]
	ds_read_b128 v[65:68], v199 offset:3072
	ds_read_b128 v[69:72], v199 offset:5120
	;; [unrolled: 1-line block ×9, first 2 shown]
	s_mov_b32 s18, s12
	s_mov_b32 s14, 0x372fe950
	;; [unrolled: 1-line block ×5, first 2 shown]
	v_lshrrev_b32_e32 v56, 3, v198
	v_mul_u32_u24_e32 v56, 0x50, v56
	v_or_b32_e32 v53, v56, v53
	s_waitcnt vmcnt(8) lgkmcnt(8)
	v_mul_f64 v[54:55], v[67:68], v[39:40]
	s_waitcnt vmcnt(7) lgkmcnt(7)
	v_mul_f64 v[135:136], v[71:72], v[47:48]
	v_mul_f64 v[137:138], v[69:70], v[47:48]
	s_waitcnt vmcnt(6) lgkmcnt(6)
	v_mul_f64 v[139:140], v[87:88], v[43:44]
	v_mul_f64 v[142:143], v[85:86], v[43:44]
	;; [unrolled: 1-line block ×3, first 2 shown]
	s_waitcnt vmcnt(5) lgkmcnt(5)
	v_mul_f64 v[144:145], v[89:90], v[51:52]
	v_mul_f64 v[146:147], v[91:92], v[51:52]
	s_waitcnt vmcnt(4) lgkmcnt(4)
	v_mul_f64 v[148:149], v[95:96], v[35:36]
	v_mul_f64 v[150:151], v[93:94], v[35:36]
	s_waitcnt vmcnt(3) lgkmcnt(3)
	v_mul_f64 v[152:153], v[99:100], v[79:80]
	v_mul_f64 v[154:155], v[97:98], v[79:80]
	s_waitcnt vmcnt(2) lgkmcnt(2)
	v_mul_f64 v[156:157], v[107:108], v[75:76]
	v_mul_f64 v[158:159], v[105:106], v[75:76]
	s_waitcnt vmcnt(1) lgkmcnt(1)
	v_mul_f64 v[160:161], v[111:112], v[63:64]
	v_mul_f64 v[162:163], v[109:110], v[63:64]
	s_waitcnt vmcnt(0) lgkmcnt(0)
	v_mul_f64 v[164:165], v[121:122], v[59:60]
	v_fma_f64 v[54:55], v[65:66], v[37:38], -v[54:55]
	v_fma_f64 v[69:70], v[69:70], v[45:46], -v[135:136]
	v_fma_f64 v[71:72], v[71:72], v[45:46], v[137:138]
	v_fma_f64 v[85:86], v[85:86], v[41:42], -v[139:140]
	v_fma_f64 v[87:88], v[87:88], v[41:42], v[142:143]
	v_fma_f64 v[133:134], v[67:68], v[37:38], v[133:134]
	;; [unrolled: 1-line block ×3, first 2 shown]
	v_fma_f64 v[89:90], v[89:90], v[49:50], -v[146:147]
	v_mul_f64 v[135:136], v[123:124], v[59:60]
	v_fma_f64 v[93:94], v[93:94], v[33:34], -v[148:149]
	v_fma_f64 v[95:96], v[95:96], v[33:34], v[150:151]
	v_fma_f64 v[97:98], v[97:98], v[77:78], -v[152:153]
	v_fma_f64 v[99:100], v[99:100], v[77:78], v[154:155]
	;; [unrolled: 2-line block ×4, first 2 shown]
	v_fma_f64 v[123:124], v[123:124], v[57:58], v[164:165]
	ds_read_b128 v[65:68], v0
	s_waitcnt lgkmcnt(0)
	s_barrier
	buffer_gl0_inv
	v_add_f64 v[180:181], v[54:55], -v[69:70]
	v_add_f64 v[184:185], v[69:70], -v[54:55]
	v_add_f64 v[137:138], v[69:70], v[85:86]
	v_add_f64 v[139:140], v[71:72], v[87:88]
	v_add_f64 v[154:155], v[71:72], -v[87:88]
	v_add_f64 v[142:143], v[133:134], v[91:92]
	v_add_f64 v[144:145], v[54:55], v[89:90]
	v_fma_f64 v[121:122], v[121:122], v[57:58], -v[135:136]
	v_add_f64 v[152:153], v[133:134], -v[91:92]
	v_add_f64 v[156:157], v[54:55], -v[89:90]
	v_add_f64 v[158:159], v[69:70], -v[85:86]
	v_add_f64 v[182:183], v[89:90], -v[85:86]
	v_add_f64 v[186:187], v[85:86], -v[89:90]
	v_add_f64 v[203:204], v[133:134], -v[71:72]
	v_add_f64 v[146:147], v[105:106], v[109:110]
	v_add_f64 v[174:175], v[107:108], v[111:112]
	v_add_f64 v[178:179], v[99:100], v[123:124]
	v_add_f64 v[205:206], v[91:92], -v[87:88]
	v_add_f64 v[207:208], v[71:72], -v[133:134]
	;; [unrolled: 1-line block ×3, first 2 shown]
	v_add_f64 v[135:136], v[65:66], v[97:98]
	v_add_f64 v[172:173], v[67:68], v[99:100]
	;; [unrolled: 1-line block ×3, first 2 shown]
	v_add_f64 v[148:149], v[99:100], -v[123:124]
	v_fma_f64 v[137:138], v[137:138], -0.5, v[93:94]
	v_fma_f64 v[139:140], v[139:140], -0.5, v[95:96]
	v_add_f64 v[150:151], v[107:108], -v[111:112]
	v_fma_f64 v[142:143], v[142:143], -0.5, v[95:96]
	v_fma_f64 v[144:145], v[144:145], -0.5, v[93:94]
	v_add_f64 v[164:165], v[97:98], v[121:122]
	v_add_f64 v[93:94], v[95:96], v[133:134]
	v_add_f64 v[160:161], v[97:98], -v[105:106]
	v_add_f64 v[168:169], v[105:106], -v[97:98]
	;; [unrolled: 1-line block ×5, first 2 shown]
	v_fma_f64 v[95:96], v[146:147], -0.5, v[65:66]
	v_fma_f64 v[133:134], v[174:175], -0.5, v[67:68]
	;; [unrolled: 1-line block ×3, first 2 shown]
	v_add_f64 v[146:147], v[180:181], v[182:183]
	v_add_f64 v[174:175], v[203:204], v[205:206]
	v_add_f64 v[162:163], v[121:122], -v[109:110]
	v_add_f64 v[178:179], v[207:208], v[209:210]
	v_add_f64 v[219:220], v[99:100], -v[107:108]
	v_add_f64 v[99:100], v[107:108], -v[99:100]
	v_add_f64 v[105:106], v[135:136], v[105:106]
	v_fma_f64 v[217:218], v[152:153], s[16:17], v[137:138]
	v_fma_f64 v[211:212], v[156:157], s[16:17], v[139:140]
	;; [unrolled: 1-line block ×8, first 2 shown]
	v_fma_f64 v[65:66], v[164:165], -0.5, v[65:66]
	v_add_f64 v[164:165], v[184:185], v[186:187]
	v_add_f64 v[107:108], v[172:173], v[107:108]
	;; [unrolled: 1-line block ×4, first 2 shown]
	v_add_f64 v[221:222], v[123:124], -v[111:112]
	v_add_f64 v[223:224], v[111:112], -v[123:124]
	v_fma_f64 v[71:72], v[148:149], s[4:5], v[95:96]
	v_fma_f64 v[93:94], v[148:149], s[16:17], v[95:96]
	v_add_f64 v[135:136], v[160:161], v[162:163]
	v_add_lshl_u32 v203, v200, v53, 4
	v_add_f64 v[105:106], v[105:106], v[109:110]
	v_fma_f64 v[186:187], v[154:155], s[18:19], v[217:218]
	v_fma_f64 v[180:181], v[158:159], s[18:19], v[211:212]
	;; [unrolled: 1-line block ×8, first 2 shown]
	v_add_f64 v[152:153], v[168:169], v[170:171]
	v_fma_f64 v[95:96], v[150:151], s[16:17], v[65:66]
	v_fma_f64 v[65:66], v[150:151], s[4:5], v[65:66]
	;; [unrolled: 1-line block ×6, first 2 shown]
	v_add_f64 v[107:108], v[107:108], v[111:112]
	v_add_f64 v[54:55], v[54:55], v[85:86]
	;; [unrolled: 1-line block ×4, first 2 shown]
	v_fma_f64 v[71:72], v[150:151], s[12:13], v[71:72]
	v_fma_f64 v[85:86], v[150:151], s[18:19], v[93:94]
	v_add_f64 v[105:106], v[105:106], v[121:122]
	v_fma_f64 v[168:169], v[146:147], s[14:15], v[186:187]
	v_fma_f64 v[158:159], v[174:175], s[14:15], v[180:181]
	;; [unrolled: 1-line block ×8, first 2 shown]
	v_add_f64 v[146:147], v[219:220], v[221:222]
	v_fma_f64 v[87:88], v[148:149], s[12:13], v[95:96]
	v_fma_f64 v[65:66], v[148:149], s[18:19], v[65:66]
	;; [unrolled: 1-line block ×6, first 2 shown]
	v_add_f64 v[107:108], v[107:108], v[123:124]
	v_add_f64 v[54:55], v[54:55], v[89:90]
	;; [unrolled: 1-line block ×3, first 2 shown]
	v_fma_f64 v[121:122], v[135:136], s[14:15], v[71:72]
	v_fma_f64 v[123:124], v[135:136], s[14:15], v[85:86]
	v_mul_f64 v[148:149], v[168:169], s[20:21]
	v_mul_f64 v[97:98], v[158:159], s[12:13]
	;; [unrolled: 1-line block ×8, first 2 shown]
	v_fma_f64 v[135:136], v[152:153], s[14:15], v[87:88]
	v_fma_f64 v[65:66], v[152:153], s[14:15], v[65:66]
	;; [unrolled: 1-line block ×6, first 2 shown]
	v_add_f64 v[69:70], v[105:106], v[54:55]
	v_add_f64 v[71:72], v[107:108], v[89:90]
	v_add_f64 v[85:86], v[105:106], -v[54:55]
	v_add_f64 v[87:88], v[107:108], -v[89:90]
	v_fma_f64 v[109:110], v[137:138], s[20:21], v[97:98]
	v_fma_f64 v[137:138], v[139:140], s[12:13], -v[148:149]
	v_fma_f64 v[139:140], v[158:159], s[20:21], v[150:151]
	v_fma_f64 v[111:112], v[144:145], s[14:15], v[111:112]
	v_fma_f64 v[133:134], v[142:143], s[4:5], -v[133:134]
	v_fma_f64 v[142:143], v[160:161], s[14:15], v[154:155]
	v_fma_f64 v[144:145], v[162:163], s[16:17], -v[156:157]
	v_fma_f64 v[148:149], v[168:169], s[18:19], -v[164:165]
	v_add_f64 v[89:90], v[121:122], v[109:110]
	v_add_f64 v[105:106], v[123:124], v[137:138]
	;; [unrolled: 1-line block ×8, first 2 shown]
	v_add_f64 v[109:110], v[121:122], -v[109:110]
	v_add_f64 v[121:122], v[135:136], -v[111:112]
	;; [unrolled: 1-line block ×8, first 2 shown]
	ds_write_b128 v203, v[69:72]
	ds_write_b128 v203, v[85:88] offset:640
	ds_write_b128 v203, v[89:92] offset:128
	;; [unrolled: 1-line block ×9, first 2 shown]
	s_waitcnt lgkmcnt(0)
	s_barrier
	buffer_gl0_inv
	ds_read_b128 v[137:140], v0
	ds_read_b128 v[97:100], v199 offset:1280
	ds_read_b128 v[93:96], v199 offset:2560
	;; [unrolled: 1-line block ×7, first 2 shown]
	s_and_saveexec_b32 s4, vcc_lo
	s_cbranch_execz .LBB0_9
; %bb.8:
	ds_read_b128 v[133:136], v199 offset:1024
	ds_read_b128 v[65:68], v199 offset:2304
	;; [unrolled: 1-line block ×8, first 2 shown]
.LBB0_9:
	s_or_b32 exec_lo, exec_lo, s4
	v_mad_u64_u32 v[154:155], null, 0x70, v198, s[0:1]
	s_mov_b32 s5, 0x3fe6a09e
	s_clause 0x1
	global_load_dwordx4 v[85:88], v[154:155], off offset:1152
	global_load_dwordx4 v[89:92], v[154:155], off offset:1168
	s_waitcnt vmcnt(1) lgkmcnt(6)
	v_mul_f64 v[142:143], v[99:100], v[87:88]
	v_fma_f64 v[142:143], v[97:98], v[85:86], -v[142:143]
	v_mul_f64 v[97:98], v[97:98], v[87:88]
	v_fma_f64 v[144:145], v[99:100], v[85:86], v[97:98]
	s_waitcnt vmcnt(0) lgkmcnt(5)
	v_mul_f64 v[97:98], v[95:96], v[91:92]
	v_fma_f64 v[146:147], v[93:94], v[89:90], -v[97:98]
	v_mul_f64 v[93:94], v[93:94], v[91:92]
	v_fma_f64 v[148:149], v[95:96], v[89:90], v[93:94]
	s_clause 0x1
	global_load_dwordx4 v[93:96], v[154:155], off offset:1184
	global_load_dwordx4 v[97:100], v[154:155], off offset:1200
	s_waitcnt vmcnt(1) lgkmcnt(4)
	v_mul_f64 v[150:151], v[111:112], v[95:96]
	v_fma_f64 v[150:151], v[109:110], v[93:94], -v[150:151]
	v_mul_f64 v[109:110], v[109:110], v[95:96]
	v_fma_f64 v[152:153], v[111:112], v[93:94], v[109:110]
	s_waitcnt vmcnt(0) lgkmcnt(3)
	v_mul_f64 v[109:110], v[107:108], v[99:100]
	v_fma_f64 v[168:169], v[105:106], v[97:98], -v[109:110]
	v_mul_f64 v[105:106], v[105:106], v[99:100]
	v_fma_f64 v[170:171], v[107:108], v[97:98], v[105:106]
	s_clause 0x1
	global_load_dwordx4 v[105:108], v[154:155], off offset:1216
	global_load_dwordx4 v[109:112], v[154:155], off offset:1232
	s_waitcnt vmcnt(1) lgkmcnt(2)
	v_mul_f64 v[156:157], v[123:124], v[107:108]
	v_fma_f64 v[172:173], v[121:122], v[105:106], -v[156:157]
	v_mul_f64 v[121:122], v[121:122], v[107:108]
	v_add_f64 v[172:173], v[142:143], -v[172:173]
	v_fma_f64 v[174:175], v[123:124], v[105:106], v[121:122]
	s_waitcnt vmcnt(0) lgkmcnt(1)
	v_mul_f64 v[121:122], v[55:56], v[111:112]
	v_add_f64 v[174:175], v[144:145], -v[174:175]
	v_fma_f64 v[176:177], v[53:54], v[109:110], -v[121:122]
	v_mul_f64 v[53:54], v[53:54], v[111:112]
	v_add_f64 v[176:177], v[146:147], -v[176:177]
	v_fma_f64 v[178:179], v[55:56], v[109:110], v[53:54]
	v_add_nc_u32_e32 v53, -16, v198
	v_cndmask_b32_e32 v53, v53, v141, vcc_lo
	v_fma_f64 v[141:142], v[142:143], 2.0, -v[172:173]
	v_fma_f64 v[143:144], v[144:145], 2.0, -v[174:175]
	v_mul_i32_i24_e32 v54, 0x70, v53
	v_mul_hi_i32_i24_e32 v53, 0x70, v53
	v_add_co_u32 v180, s0, s0, v54
	v_add_co_ci_u32_e64 v181, s0, s1, v53, s0
	s_clause 0x1
	global_load_dwordx4 v[121:124], v[154:155], off offset:1248
	global_load_dwordx4 v[53:56], v[180:181], off offset:1152
	v_add_f64 v[178:179], v[148:149], -v[178:179]
	s_mov_b32 s0, 0x667f3bcd
	s_mov_b32 s1, 0xbfe6a09e
	;; [unrolled: 1-line block ×3, first 2 shown]
	s_waitcnt vmcnt(1) lgkmcnt(0)
	v_mul_f64 v[154:155], v[71:72], v[123:124]
	v_fma_f64 v[182:183], v[69:70], v[121:122], -v[154:155]
	v_mul_f64 v[69:70], v[69:70], v[123:124]
	v_add_f64 v[182:183], v[150:151], -v[182:183]
	v_fma_f64 v[184:185], v[71:72], v[121:122], v[69:70]
	s_waitcnt vmcnt(0)
	v_mul_f64 v[69:70], v[67:68], v[55:56]
	v_add_f64 v[218:219], v[174:175], v[182:183]
	v_add_f64 v[184:185], v[152:153], -v[184:185]
	v_fma_f64 v[154:155], v[65:66], v[53:54], -v[69:70]
	v_mul_f64 v[65:66], v[65:66], v[55:56]
	v_fma_f64 v[156:157], v[67:68], v[53:54], v[65:66]
	s_clause 0x1
	global_load_dwordx4 v[65:68], v[180:181], off offset:1168
	global_load_dwordx4 v[69:72], v[180:181], off offset:1184
	s_waitcnt vmcnt(1)
	v_mul_f64 v[158:159], v[83:84], v[67:68]
	v_fma_f64 v[158:159], v[81:82], v[65:66], -v[158:159]
	v_mul_f64 v[81:82], v[81:82], v[67:68]
	v_fma_f64 v[160:161], v[83:84], v[65:66], v[81:82]
	s_waitcnt vmcnt(0)
	v_mul_f64 v[81:82], v[103:104], v[71:72]
	v_fma_f64 v[162:163], v[101:102], v[69:70], -v[81:82]
	v_mul_f64 v[81:82], v[101:102], v[71:72]
	v_fma_f64 v[164:165], v[103:104], v[69:70], v[81:82]
	s_clause 0x1
	global_load_dwordx4 v[81:84], v[180:181], off offset:1200
	global_load_dwordx4 v[101:104], v[180:181], off offset:1216
	s_waitcnt vmcnt(1)
	v_mul_f64 v[186:187], v[119:120], v[83:84]
	v_fma_f64 v[186:187], v[117:118], v[81:82], -v[186:187]
	v_mul_f64 v[117:118], v[117:118], v[83:84]
	v_fma_f64 v[204:205], v[119:120], v[81:82], v[117:118]
	s_waitcnt vmcnt(0)
	v_mul_f64 v[117:118], v[115:116], v[103:104]
	v_fma_f64 v[206:207], v[113:114], v[101:102], -v[117:118]
	v_mul_f64 v[113:114], v[113:114], v[103:104]
	v_add_f64 v[206:207], v[154:155], -v[206:207]
	v_fma_f64 v[208:209], v[115:116], v[101:102], v[113:114]
	s_clause 0x1
	global_load_dwordx4 v[113:116], v[180:181], off offset:1232
	global_load_dwordx4 v[117:120], v[180:181], off offset:1248
	v_add_f64 v[208:209], v[156:157], -v[208:209]
	s_waitcnt vmcnt(1)
	v_mul_f64 v[180:181], v[131:132], v[115:116]
	v_fma_f64 v[180:181], v[129:130], v[113:114], -v[180:181]
	v_mul_f64 v[129:130], v[129:130], v[115:116]
	v_add_f64 v[180:181], v[158:159], -v[180:181]
	v_fma_f64 v[129:130], v[131:132], v[113:114], v[129:130]
	s_waitcnt vmcnt(0)
	v_mul_f64 v[131:132], v[127:128], v[119:120]
	v_add_f64 v[224:225], v[160:161], -v[129:130]
	v_fma_f64 v[131:132], v[125:126], v[117:118], -v[131:132]
	v_mul_f64 v[125:126], v[125:126], v[119:120]
	v_add_f64 v[228:229], v[162:163], -v[131:132]
	v_fma_f64 v[125:126], v[127:128], v[117:118], v[125:126]
	v_add_f64 v[127:128], v[137:138], -v[168:169]
	v_add_f64 v[168:169], v[139:140], -v[170:171]
	;; [unrolled: 1-line block ×5, first 2 shown]
	v_add_f64 v[216:217], v[168:169], v[176:177]
	v_fma_f64 v[210:211], v[137:138], 2.0, -v[127:128]
	v_fma_f64 v[212:213], v[139:140], 2.0, -v[168:169]
	v_add_f64 v[125:126], v[206:207], -v[226:227]
	v_fma_f64 v[137:138], v[170:171], s[4:5], v[214:215]
	v_fma_f64 v[139:140], v[218:219], s[4:5], v[216:217]
	v_fma_f64 v[220:221], v[127:128], 2.0, -v[214:215]
	v_fma_f64 v[222:223], v[168:169], 2.0, -v[216:217]
	;; [unrolled: 1-line block ×4, first 2 shown]
	v_fma_f64 v[137:138], v[218:219], s[0:1], v[137:138]
	v_fma_f64 v[139:140], v[170:171], s[4:5], v[139:140]
	;; [unrolled: 1-line block ×6, first 2 shown]
	v_add_f64 v[127:128], v[133:134], -v[186:187]
	v_add_f64 v[186:187], v[135:136], -v[204:205]
	v_fma_f64 v[204:205], v[133:134], 2.0, -v[127:128]
	v_add_f64 v[232:233], v[186:187], v[180:181]
	v_add_f64 v[133:134], v[208:209], v[228:229]
	v_add_f64 v[230:231], v[127:128], -v[224:225]
	v_fma_f64 v[218:219], v[135:136], 2.0, -v[186:187]
	v_fma_f64 v[186:187], v[186:187], 2.0, -v[232:233]
	v_fma_f64 v[131:132], v[133:134], s[4:5], v[232:233]
	v_fma_f64 v[129:130], v[125:126], s[4:5], v[230:231]
	v_fma_f64 v[234:235], v[127:128], 2.0, -v[230:231]
	v_fma_f64 v[127:128], v[206:207], 2.0, -v[125:126]
	v_fma_f64 v[131:132], v[125:126], s[4:5], v[131:132]
	v_fma_f64 v[125:126], v[208:209], 2.0, -v[133:134]
	v_fma_f64 v[129:130], v[133:134], s[0:1], v[129:130]
	v_fma_f64 v[133:134], v[127:128], s[0:1], v[234:235]
	;; [unrolled: 1-line block ×4, first 2 shown]
	v_fma_f64 v[133:134], v[146:147], 2.0, -v[176:177]
	v_fma_f64 v[145:146], v[150:151], 2.0, -v[182:183]
	v_fma_f64 v[127:128], v[127:128], s[4:5], v[135:136]
	v_fma_f64 v[135:136], v[148:149], 2.0, -v[178:179]
	v_fma_f64 v[147:148], v[152:153], 2.0, -v[184:185]
	v_add_f64 v[149:150], v[210:211], -v[133:134]
	v_add_f64 v[145:146], v[141:142], -v[145:146]
	;; [unrolled: 1-line block ×4, first 2 shown]
	v_fma_f64 v[172:173], v[210:211], 2.0, -v[149:150]
	v_fma_f64 v[133:134], v[141:142], 2.0, -v[145:146]
	;; [unrolled: 1-line block ×4, first 2 shown]
	v_add_f64 v[133:134], v[172:173], -v[133:134]
	v_add_f64 v[135:136], v[174:175], -v[135:136]
	v_fma_f64 v[141:142], v[172:173], 2.0, -v[133:134]
	v_fma_f64 v[143:144], v[174:175], 2.0, -v[135:136]
	ds_write_b128 v0, v[141:144]
	v_fma_f64 v[141:142], v[220:221], 2.0, -v[168:169]
	v_fma_f64 v[143:144], v[222:223], 2.0, -v[170:171]
	ds_write_b128 v199, v[141:144] offset:1280
	v_add_f64 v[141:142], v[149:150], -v[147:148]
	v_add_f64 v[143:144], v[151:152], v[145:146]
	v_fma_f64 v[145:146], v[149:150], 2.0, -v[141:142]
	v_fma_f64 v[147:148], v[151:152], 2.0, -v[143:144]
	ds_write_b128 v199, v[145:148] offset:2560
	v_fma_f64 v[145:146], v[214:215], 2.0, -v[137:138]
	v_fma_f64 v[147:148], v[216:217], 2.0, -v[139:140]
	ds_write_b128 v199, v[145:148] offset:3840
	ds_write_b128 v199, v[133:136] offset:5120
	;; [unrolled: 1-line block ×5, first 2 shown]
	v_fma_f64 v[133:134], v[154:155], 2.0, -v[206:207]
	v_fma_f64 v[135:136], v[156:157], 2.0, -v[208:209]
	v_fma_f64 v[137:138], v[162:163], 2.0, -v[228:229]
	v_fma_f64 v[139:140], v[164:165], 2.0, -v[226:227]
	v_fma_f64 v[141:142], v[158:159], 2.0, -v[180:181]
	v_fma_f64 v[143:144], v[160:161], 2.0, -v[224:225]
	v_fma_f64 v[145:146], v[230:231], 2.0, -v[129:130]
	v_fma_f64 v[147:148], v[232:233], 2.0, -v[131:132]
	v_add_f64 v[137:138], v[133:134], -v[137:138]
	v_add_f64 v[139:140], v[135:136], -v[139:140]
	;; [unrolled: 1-line block ×4, first 2 shown]
	v_fma_f64 v[133:134], v[133:134], 2.0, -v[137:138]
	v_fma_f64 v[135:136], v[135:136], 2.0, -v[139:140]
	v_add_f64 v[153:154], v[141:142], -v[139:140]
	v_add_f64 v[155:156], v[143:144], v[137:138]
	v_fma_f64 v[137:138], v[204:205], 2.0, -v[141:142]
	v_fma_f64 v[139:140], v[218:219], 2.0, -v[143:144]
	;; [unrolled: 1-line block ×4, first 2 shown]
	v_add_f64 v[149:150], v[137:138], -v[133:134]
	v_add_f64 v[151:152], v[139:140], -v[135:136]
	v_fma_f64 v[133:134], v[137:138], 2.0, -v[149:150]
	v_fma_f64 v[135:136], v[139:140], 2.0, -v[151:152]
	;; [unrolled: 1-line block ×4, first 2 shown]
	s_and_saveexec_b32 s0, vcc_lo
	s_cbranch_execz .LBB0_11
; %bb.10:
	ds_write_b128 v199, v[133:136] offset:1024
	ds_write_b128 v199, v[137:140] offset:2304
	;; [unrolled: 1-line block ×8, first 2 shown]
.LBB0_11:
	s_or_b32 exec_lo, exec_lo, s0
	s_add_u32 s4, s6, 0x2800
	s_addc_u32 s5, s7, 0
	s_waitcnt lgkmcnt(0)
	s_barrier
	buffer_gl0_inv
	s_clause 0x1
	global_load_dwordx4 v[168:171], v167, s[4:5]
	global_load_dwordx4 v[172:175], v167, s[4:5] offset:1280
	v_add_co_u32 v157, s0, s4, v167
	v_add_co_ci_u32_e64 v158, null, s5, 0, s0
	v_add_co_u32 v159, s0, 0x800, v157
	v_add_co_ci_u32_e64 v160, s0, 0, v158, s0
	v_add_co_u32 v161, s0, 0x1800, v157
	v_add_co_ci_u32_e64 v162, s0, 0, v158, s0
	v_add_co_u32 v163, s0, 0x2000, v157
	s_clause 0x2
	global_load_dwordx4 v[176:179], v[159:160], off offset:1792
	global_load_dwordx4 v[180:183], v[159:160], off offset:512
	global_load_dwordx4 v[184:187], v166, s[4:5]
	v_add_co_ci_u32_e64 v164, s0, 0, v158, s0
	s_clause 0x2
	global_load_dwordx4 v[204:207], v[161:162], off offset:256
	global_load_dwordx4 v[208:211], v[161:162], off offset:1536
	;; [unrolled: 1-line block ×3, first 2 shown]
	ds_read_b128 v[216:219], v0
	s_waitcnt vmcnt(7) lgkmcnt(0)
	v_mul_f64 v[165:166], v[218:219], v[170:171]
	v_mul_f64 v[170:171], v[216:217], v[170:171]
	v_fma_f64 v[165:166], v[216:217], v[168:169], -v[165:166]
	v_fma_f64 v[167:168], v[218:219], v[168:169], v[170:171]
	ds_write_b128 v0, v[165:168]
	ds_read_b128 v[165:168], v199 offset:1280
	ds_read_b128 v[216:219], v199 offset:2560
	;; [unrolled: 1-line block ×7, first 2 shown]
	s_waitcnt vmcnt(6) lgkmcnt(6)
	v_mul_f64 v[169:170], v[167:168], v[174:175]
	v_mul_f64 v[174:175], v[165:166], v[174:175]
	s_waitcnt vmcnt(4) lgkmcnt(5)
	v_mul_f64 v[240:241], v[218:219], v[182:183]
	v_mul_f64 v[182:183], v[216:217], v[182:183]
	s_waitcnt lgkmcnt(4)
	v_mul_f64 v[242:243], v[222:223], v[178:179]
	v_mul_f64 v[178:179], v[220:221], v[178:179]
	s_waitcnt vmcnt(3) lgkmcnt(3)
	v_mul_f64 v[244:245], v[226:227], v[186:187]
	v_mul_f64 v[186:187], v[224:225], v[186:187]
	s_waitcnt vmcnt(2) lgkmcnt(2)
	;; [unrolled: 3-line block ×4, first 2 shown]
	v_mul_f64 v[250:251], v[238:239], v[214:215]
	v_mul_f64 v[214:215], v[236:237], v[214:215]
	v_fma_f64 v[165:166], v[165:166], v[172:173], -v[169:170]
	v_fma_f64 v[167:168], v[167:168], v[172:173], v[174:175]
	v_fma_f64 v[169:170], v[216:217], v[180:181], -v[240:241]
	v_fma_f64 v[171:172], v[218:219], v[180:181], v[182:183]
	;; [unrolled: 2-line block ×7, first 2 shown]
	v_or_b32_e32 v204, 0x180, v198
	ds_write_b128 v199, v[165:168] offset:1280
	ds_write_b128 v199, v[169:172] offset:2560
	;; [unrolled: 1-line block ×7, first 2 shown]
	v_lshlrev_b32_e32 v204, 4, v204
	s_and_saveexec_b32 s1, vcc_lo
	s_cbranch_execz .LBB0_13
; %bb.12:
	s_clause 0x2
	global_load_dwordx4 v[165:168], v[157:158], off offset:1024
	global_load_dwordx4 v[169:172], v[159:160], off offset:256
	;; [unrolled: 1-line block ×3, first 2 shown]
	v_add_co_u32 v181, s0, 0x1000, v157
	v_add_co_ci_u32_e64 v182, s0, 0, v158, s0
	s_clause 0x4
	global_load_dwordx4 v[157:160], v[161:162], off offset:1280
	global_load_dwordx4 v[177:180], v[163:164], off offset:512
	;; [unrolled: 1-line block ×4, first 2 shown]
	global_load_dwordx4 v[185:188], v204, s[4:5]
	ds_read_b128 v[205:208], v199 offset:1024
	ds_read_b128 v[209:212], v199 offset:2304
	ds_read_b128 v[213:216], v199 offset:3584
	ds_read_b128 v[217:220], v199 offset:7424
	ds_read_b128 v[221:224], v199 offset:8704
	ds_read_b128 v[225:228], v199 offset:9984
	ds_read_b128 v[229:232], v199 offset:4864
	ds_read_b128 v[233:236], v199 offset:6144
	s_waitcnt vmcnt(7) lgkmcnt(7)
	v_mul_f64 v[237:238], v[207:208], v[167:168]
	v_mul_f64 v[167:168], v[205:206], v[167:168]
	s_waitcnt vmcnt(6) lgkmcnt(6)
	v_mul_f64 v[239:240], v[211:212], v[171:172]
	v_mul_f64 v[171:172], v[209:210], v[171:172]
	;; [unrolled: 3-line block ×7, first 2 shown]
	v_mul_f64 v[247:248], v[227:228], v[163:164]
	v_mul_f64 v[253:254], v[225:226], v[163:164]
	v_fma_f64 v[163:164], v[205:206], v[165:166], -v[237:238]
	v_fma_f64 v[165:166], v[207:208], v[165:166], v[167:168]
	v_fma_f64 v[167:168], v[209:210], v[169:170], -v[239:240]
	v_fma_f64 v[169:170], v[211:212], v[169:170], v[171:172]
	;; [unrolled: 2-line block ×8, first 2 shown]
	ds_write_b128 v199, v[163:166] offset:1024
	ds_write_b128 v199, v[167:170] offset:2304
	;; [unrolled: 1-line block ×8, first 2 shown]
.LBB0_13:
	s_or_b32 exec_lo, exec_lo, s1
	s_waitcnt lgkmcnt(0)
	s_barrier
	buffer_gl0_inv
	ds_read_b128 v[165:168], v0
	ds_read_b128 v[161:164], v199 offset:1280
	ds_read_b128 v[169:172], v199 offset:2560
	ds_read_b128 v[157:160], v199 offset:3840
	ds_read_b128 v[185:188], v199 offset:5120
	ds_read_b128 v[177:180], v199 offset:6400
	ds_read_b128 v[181:184], v199 offset:7680
	ds_read_b128 v[173:176], v199 offset:8960
	s_and_saveexec_b32 s0, vcc_lo
	s_cbranch_execz .LBB0_15
; %bb.14:
	ds_read_b128 v[133:136], v199 offset:1024
	ds_read_b128 v[137:140], v199 offset:2304
	;; [unrolled: 1-line block ×8, first 2 shown]
.LBB0_15:
	s_or_b32 exec_lo, exec_lo, s0
	s_waitcnt lgkmcnt(3)
	v_add_f64 v[185:186], v[165:166], -v[185:186]
	v_add_f64 v[187:188], v[167:168], -v[187:188]
	s_waitcnt lgkmcnt(1)
	v_add_f64 v[181:182], v[169:170], -v[181:182]
	v_add_f64 v[183:184], v[171:172], -v[183:184]
	;; [unrolled: 1-line block ×4, first 2 shown]
	s_waitcnt lgkmcnt(0)
	v_add_f64 v[173:174], v[157:158], -v[173:174]
	v_add_f64 v[175:176], v[159:160], -v[175:176]
	;; [unrolled: 1-line block ×10, first 2 shown]
	s_mov_b32 s0, 0x667f3bcd
	s_mov_b32 s1, 0xbfe6a09e
	;; [unrolled: 1-line block ×4, first 2 shown]
	s_barrier
	v_fma_f64 v[165:166], v[165:166], 2.0, -v[185:186]
	v_fma_f64 v[167:168], v[167:168], 2.0, -v[187:188]
	;; [unrolled: 1-line block ×8, first 2 shown]
	v_add_f64 v[183:184], v[185:186], v[183:184]
	v_add_f64 v[181:182], v[187:188], -v[181:182]
	v_add_f64 v[175:176], v[177:178], v[175:176]
	v_add_f64 v[173:174], v[179:180], -v[173:174]
	v_fma_f64 v[133:134], v[133:134], 2.0, -v[149:150]
	v_fma_f64 v[135:136], v[135:136], 2.0, -v[151:152]
	;; [unrolled: 1-line block ×8, first 2 shown]
	v_add_f64 v[205:206], v[155:156], v[149:150]
	v_add_f64 v[207:208], v[151:152], -v[153:154]
	v_add_f64 v[131:132], v[131:132], v[125:126]
	v_add_f64 v[129:130], v[127:128], -v[129:130]
	v_add_f64 v[209:210], v[165:166], -v[169:170]
	;; [unrolled: 1-line block ×3, first 2 shown]
	buffer_gl0_inv
	v_add_f64 v[153:154], v[161:162], -v[157:158]
	v_add_f64 v[155:156], v[163:164], -v[159:160]
	v_fma_f64 v[185:186], v[185:186], 2.0, -v[183:184]
	v_fma_f64 v[187:188], v[187:188], 2.0, -v[181:182]
	;; [unrolled: 1-line block ×4, first 2 shown]
	v_fma_f64 v[177:178], v[175:176], s[4:5], v[183:184]
	v_fma_f64 v[179:180], v[173:174], s[4:5], v[181:182]
	v_add_f64 v[213:214], v[133:134], -v[141:142]
	v_add_f64 v[215:216], v[135:136], -v[143:144]
	;; [unrolled: 1-line block ×4, first 2 shown]
	v_fma_f64 v[149:150], v[149:150], 2.0, -v[205:206]
	v_fma_f64 v[151:152], v[151:152], 2.0, -v[207:208]
	;; [unrolled: 1-line block ×6, first 2 shown]
	v_fma_f64 v[225:226], v[131:132], s[4:5], v[205:206]
	v_fma_f64 v[227:228], v[129:130], s[4:5], v[207:208]
	v_fma_f64 v[145:146], v[161:162], 2.0, -v[153:154]
	v_fma_f64 v[147:148], v[163:164], 2.0, -v[155:156]
	v_add_f64 v[157:158], v[209:210], v[155:156]
	v_add_f64 v[159:160], v[211:212], -v[153:154]
	v_fma_f64 v[221:222], v[171:172], s[0:1], v[185:186]
	v_fma_f64 v[223:224], v[169:170], s[0:1], v[187:188]
	;; [unrolled: 1-line block ×4, first 2 shown]
	v_fma_f64 v[153:154], v[133:134], 2.0, -v[213:214]
	v_fma_f64 v[155:156], v[135:136], 2.0, -v[215:216]
	;; [unrolled: 1-line block ×4, first 2 shown]
	v_add_f64 v[137:138], v[213:214], v[143:144]
	v_add_f64 v[139:140], v[215:216], -v[141:142]
	v_fma_f64 v[229:230], v[125:126], s[0:1], v[149:150]
	v_fma_f64 v[231:232], v[127:128], s[0:1], v[151:152]
	v_add_f64 v[165:166], v[217:218], -v[145:146]
	v_add_f64 v[167:168], v[219:220], -v[147:148]
	v_fma_f64 v[145:146], v[129:130], s[4:5], v[225:226]
	v_fma_f64 v[147:148], v[131:132], s[0:1], v[227:228]
	;; [unrolled: 1-line block ×4, first 2 shown]
	v_fma_f64 v[173:174], v[209:210], 2.0, -v[157:158]
	v_fma_f64 v[175:176], v[211:212], 2.0, -v[159:160]
	;; [unrolled: 1-line block ×4, first 2 shown]
	v_add_f64 v[133:134], v[153:154], -v[133:134]
	v_add_f64 v[135:136], v[155:156], -v[135:136]
	v_fma_f64 v[141:142], v[127:128], s[4:5], v[229:230]
	v_fma_f64 v[143:144], v[125:126], s[0:1], v[231:232]
	v_fma_f64 v[125:126], v[213:214], 2.0, -v[137:138]
	v_fma_f64 v[127:128], v[215:216], 2.0, -v[139:140]
	;; [unrolled: 1-line block ×8, first 2 shown]
	ds_write_b128 v201, v[157:160] offset:96
	ds_write_b128 v201, v[173:176] offset:32
	;; [unrolled: 1-line block ×5, first 2 shown]
	ds_write_b128 v201, v[181:184]
	ds_write_b128 v201, v[185:188] offset:16
	ds_write_b128 v201, v[161:164] offset:112
	s_and_saveexec_b32 s0, vcc_lo
	s_cbranch_execz .LBB0_17
; %bb.16:
	v_fma_f64 v[155:156], v[155:156], 2.0, -v[135:136]
	v_fma_f64 v[153:154], v[153:154], 2.0, -v[133:134]
	;; [unrolled: 1-line block ×4, first 2 shown]
	v_add_lshl_u32 v157, v200, v202, 4
	ds_write_b128 v157, v[125:128] offset:32
	ds_write_b128 v157, v[129:132] offset:48
	;; [unrolled: 1-line block ×5, first 2 shown]
	ds_write_b128 v157, v[153:156]
	ds_write_b128 v157, v[149:152] offset:16
	ds_write_b128 v157, v[145:148] offset:112
.LBB0_17:
	s_or_b32 exec_lo, exec_lo, s0
	s_waitcnt lgkmcnt(0)
	s_barrier
	buffer_gl0_inv
	ds_read_b128 v[149:152], v199 offset:3072
	ds_read_b128 v[153:156], v199 offset:5120
	;; [unrolled: 1-line block ×9, first 2 shown]
	ds_read_b128 v[185:188], v0
	s_mov_b32 s12, 0x134454ff
	s_mov_b32 s13, 0xbfee6f0e
	;; [unrolled: 1-line block ×10, first 2 shown]
	s_waitcnt lgkmcnt(9)
	v_mul_f64 v[200:201], v[39:40], v[149:150]
	s_waitcnt lgkmcnt(8)
	v_mul_f64 v[205:206], v[47:48], v[153:154]
	;; [unrolled: 2-line block ×5, first 2 shown]
	v_mul_f64 v[39:40], v[39:40], v[151:152]
	v_mul_f64 v[47:48], v[47:48], v[155:156]
	;; [unrolled: 1-line block ×4, first 2 shown]
	s_waitcnt lgkmcnt(4)
	v_mul_f64 v[213:214], v[79:80], v[171:172]
	v_mul_f64 v[79:80], v[79:80], v[169:170]
	s_waitcnt lgkmcnt(1)
	v_mul_f64 v[219:220], v[59:60], v[181:182]
	v_mul_f64 v[59:60], v[59:60], v[183:184]
	;; [unrolled: 1-line block ×7, first 2 shown]
	s_mov_b32 s18, 0x9b97f4a8
	s_mov_b32 s19, 0x3fe9e377
	;; [unrolled: 1-line block ×4, first 2 shown]
	v_fma_f64 v[151:152], v[37:38], v[151:152], -v[200:201]
	v_fma_f64 v[155:156], v[45:46], v[155:156], -v[205:206]
	;; [unrolled: 1-line block ×4, first 2 shown]
	s_mov_b32 s23, 0xbfe9e377
	v_fma_f64 v[37:38], v[37:38], v[149:150], v[39:40]
	v_fma_f64 v[45:46], v[45:46], v[153:154], v[47:48]
	;; [unrolled: 1-line block ×4, first 2 shown]
	v_fma_f64 v[49:50], v[33:34], v[167:168], -v[211:212]
	v_fma_f64 v[169:170], v[77:78], v[169:170], v[213:214]
	v_fma_f64 v[77:78], v[77:78], v[171:172], -v[79:80]
	v_fma_f64 v[79:80], v[57:58], v[183:184], -v[219:220]
	v_fma_f64 v[47:48], v[57:58], v[181:182], v[59:60]
	v_fma_f64 v[39:40], v[73:74], v[173:174], v[215:216]
	v_fma_f64 v[73:74], v[73:74], v[175:176], -v[75:76]
	v_fma_f64 v[75:76], v[61:62], v[177:178], v[217:218]
	v_fma_f64 v[61:62], v[61:62], v[179:180], -v[63:64]
	v_fma_f64 v[33:34], v[33:34], v[165:166], v[35:36]
	s_mov_b32 s22, s18
	s_waitcnt lgkmcnt(0)
	s_barrier
	buffer_gl0_inv
	v_add_f64 v[211:212], v[151:152], -v[155:156]
	v_add_f64 v[51:52], v[155:156], v[159:160]
	v_add_f64 v[57:58], v[151:152], v[163:164]
	v_add_f64 v[209:210], v[151:152], -v[163:164]
	v_add_f64 v[213:214], v[163:164], -v[159:160]
	v_add_f64 v[219:220], v[155:156], -v[159:160]
	v_add_f64 v[161:162], v[45:46], v[41:42]
	v_add_f64 v[165:166], v[37:38], v[43:44]
	v_add_f64 v[167:168], v[37:38], -v[43:44]
	v_add_f64 v[171:172], v[45:46], -v[41:42]
	v_add_f64 v[35:36], v[185:186], v[169:170]
	v_add_f64 v[207:208], v[77:78], v[79:80]
	;; [unrolled: 1-line block ×3, first 2 shown]
	v_add_f64 v[153:154], v[169:170], -v[39:40]
	v_add_f64 v[215:216], v[155:156], -v[151:152]
	v_add_f64 v[59:60], v[39:40], v[75:76]
	v_add_f64 v[157:158], v[47:48], -v[75:76]
	v_add_f64 v[181:182], v[73:74], v[61:62]
	;; [unrolled: 2-line block ×3, first 2 shown]
	v_add_f64 v[63:64], v[77:78], -v[79:80]
	v_add_f64 v[149:150], v[73:74], -v[61:62]
	;; [unrolled: 1-line block ×3, first 2 shown]
	v_fma_f64 v[51:52], v[51:52], -0.5, v[49:50]
	v_fma_f64 v[57:58], v[57:58], -0.5, v[49:50]
	v_add_f64 v[49:50], v[49:50], v[151:152]
	v_add_f64 v[177:178], v[75:76], -v[47:48]
	v_add_f64 v[169:170], v[169:170], -v[47:48]
	v_fma_f64 v[161:162], v[161:162], -0.5, v[33:34]
	v_fma_f64 v[165:166], v[165:166], -0.5, v[33:34]
	v_add_f64 v[33:34], v[33:34], v[37:38]
	v_add_f64 v[183:184], v[39:40], -v[75:76]
	v_add_f64 v[227:228], v[37:38], -v[45:46]
	;; [unrolled: 1-line block ×3, first 2 shown]
	v_add_f64 v[35:36], v[35:36], v[39:40]
	v_fma_f64 v[39:40], v[173:174], -0.5, v[185:186]
	v_add_f64 v[173:174], v[211:212], v[213:214]
	v_fma_f64 v[59:60], v[59:60], -0.5, v[185:186]
	;; [unrolled: 2-line block ×3, first 2 shown]
	v_fma_f64 v[157:158], v[207:208], -0.5, v[187:188]
	v_add_f64 v[37:38], v[45:46], -v[37:38]
	v_add_f64 v[231:232], v[41:42], -v[43:44]
	v_add_f64 v[181:182], v[215:216], v[217:218]
	v_add_f64 v[200:201], v[77:78], -v[73:74]
	v_fma_f64 v[223:224], v[167:168], s[4:5], v[51:52]
	v_fma_f64 v[225:226], v[171:172], s[12:13], v[57:58]
	v_fma_f64 v[57:58], v[171:172], s[4:5], v[57:58]
	v_fma_f64 v[51:52], v[167:168], s[12:13], v[51:52]
	v_add_f64 v[77:78], v[73:74], -v[77:78]
	v_fma_f64 v[185:186], v[209:210], s[12:13], v[161:162]
	v_fma_f64 v[187:188], v[219:220], s[4:5], v[165:166]
	;; [unrolled: 1-line block ×4, first 2 shown]
	v_add_f64 v[73:74], v[179:180], v[73:74]
	v_add_f64 v[33:34], v[33:34], v[45:46]
	;; [unrolled: 1-line block ×3, first 2 shown]
	v_add_f64 v[205:206], v[79:80], -v[61:62]
	v_add_f64 v[221:222], v[61:62], -v[79:80]
	v_add_f64 v[45:46], v[227:228], v[229:230]
	v_fma_f64 v[155:156], v[63:64], s[12:13], v[59:60]
	v_fma_f64 v[59:60], v[63:64], s[4:5], v[59:60]
	v_add_f64 v[35:36], v[35:36], v[75:76]
	v_add_f64 v[37:38], v[37:38], v[231:232]
	v_fma_f64 v[207:208], v[171:172], s[16:17], v[223:224]
	v_fma_f64 v[211:212], v[167:168], s[16:17], v[225:226]
	;; [unrolled: 1-line block ×4, first 2 shown]
	v_add_f64 v[167:168], v[175:176], v[177:178]
	v_fma_f64 v[171:172], v[149:150], s[4:5], v[39:40]
	v_fma_f64 v[39:40], v[149:150], s[12:13], v[39:40]
	;; [unrolled: 1-line block ×10, first 2 shown]
	v_add_f64 v[61:62], v[73:74], v[61:62]
	v_add_f64 v[33:34], v[33:34], v[41:42]
	;; [unrolled: 1-line block ×4, first 2 shown]
	v_fma_f64 v[49:50], v[149:150], s[14:15], v[155:156]
	v_fma_f64 v[59:60], v[149:150], s[16:17], v[59:60]
	v_add_f64 v[35:36], v[35:36], v[47:48]
	v_fma_f64 v[187:188], v[173:174], s[0:1], v[207:208]
	v_fma_f64 v[207:208], v[181:182], s[0:1], v[211:212]
	;; [unrolled: 1-line block ×4, first 2 shown]
	v_add_f64 v[173:174], v[200:201], v[205:206]
	v_fma_f64 v[73:74], v[63:64], s[14:15], v[171:172]
	v_fma_f64 v[39:40], v[63:64], s[16:17], v[39:40]
	;; [unrolled: 1-line block ×10, first 2 shown]
	v_add_f64 v[47:48], v[61:62], v[79:80]
	v_add_f64 v[33:34], v[33:34], v[43:44]
	;; [unrolled: 1-line block ×3, first 2 shown]
	v_fma_f64 v[79:80], v[151:152], s[0:1], v[49:50]
	v_fma_f64 v[151:152], v[151:152], s[0:1], v[59:60]
	v_mul_f64 v[159:160], v[187:188], s[14:15]
	v_mul_f64 v[171:172], v[187:188], s[18:19]
	;; [unrolled: 1-line block ×8, first 2 shown]
	v_fma_f64 v[163:164], v[167:168], s[0:1], v[73:74]
	v_fma_f64 v[39:40], v[167:168], s[0:1], v[39:40]
	;; [unrolled: 1-line block ×6, first 2 shown]
	v_add_f64 v[41:42], v[35:36], v[33:34]
	v_add_f64 v[43:44], v[47:48], v[61:62]
	v_add_f64 v[47:48], v[47:48], -v[61:62]
	v_fma_f64 v[77:78], v[155:156], s[18:19], v[159:160]
	v_fma_f64 v[155:156], v[155:156], s[16:17], v[171:172]
	;; [unrolled: 1-line block ×8, first 2 shown]
	v_add_f64 v[45:46], v[35:36], -v[33:34]
	v_add_f64 v[49:50], v[79:80], v[77:78]
	v_add_f64 v[51:52], v[167:168], v[155:156]
	;; [unrolled: 1-line block ×8, first 2 shown]
	v_add_f64 v[77:78], v[79:80], -v[77:78]
	v_add_f64 v[79:80], v[167:168], -v[155:156]
	;; [unrolled: 1-line block ×8, first 2 shown]
	ds_write_b128 v203, v[41:44]
	ds_write_b128 v203, v[45:48] offset:640
	ds_write_b128 v203, v[49:52] offset:128
	;; [unrolled: 1-line block ×9, first 2 shown]
	s_waitcnt lgkmcnt(0)
	s_barrier
	buffer_gl0_inv
	ds_read_b128 v[41:44], v0
	ds_read_b128 v[149:152], v199 offset:1280
	ds_read_b128 v[61:64], v199 offset:2560
	;; [unrolled: 1-line block ×7, first 2 shown]
	s_and_saveexec_b32 s0, vcc_lo
	s_cbranch_execz .LBB0_19
; %bb.18:
	ds_read_b128 v[33:36], v199 offset:1024
	ds_read_b128 v[37:40], v199 offset:2304
	ds_read_b128 v[125:128], v199 offset:3584
	ds_read_b128 v[129:132], v199 offset:4864
	ds_read_b128 v[133:136], v199 offset:6144
	ds_read_b128 v[141:144], v199 offset:7424
	ds_read_b128 v[137:140], v199 offset:8704
	ds_read_b128 v[145:148], v199 offset:9984
.LBB0_19:
	s_or_b32 exec_lo, exec_lo, s0
	s_waitcnt lgkmcnt(6)
	v_mul_f64 v[153:154], v[87:88], v[151:152]
	v_mul_f64 v[87:88], v[87:88], v[149:150]
	s_waitcnt lgkmcnt(5)
	v_mul_f64 v[155:156], v[91:92], v[63:64]
	v_mul_f64 v[91:92], v[91:92], v[61:62]
	;; [unrolled: 3-line block ×4, first 2 shown]
	v_mul_f64 v[161:162], v[107:108], v[59:60]
	v_mul_f64 v[107:108], v[107:108], v[57:58]
	;; [unrolled: 1-line block ×4, first 2 shown]
	s_waitcnt lgkmcnt(0)
	v_mul_f64 v[165:166], v[123:124], v[51:52]
	v_mul_f64 v[123:124], v[123:124], v[49:50]
	s_mov_b32 s0, 0x667f3bcd
	s_mov_b32 s1, 0xbfe6a09e
	s_mov_b32 s5, 0x3fe6a09e
	s_mov_b32 s4, s0
	v_fma_f64 v[149:150], v[85:86], v[149:150], v[153:154]
	v_fma_f64 v[85:86], v[85:86], v[151:152], -v[87:88]
	v_fma_f64 v[61:62], v[89:90], v[61:62], v[155:156]
	v_fma_f64 v[63:64], v[89:90], v[63:64], -v[91:92]
	;; [unrolled: 2-line block ×7, first 2 shown]
	v_add_f64 v[73:74], v[41:42], -v[73:74]
	v_add_f64 v[75:76], v[43:44], -v[75:76]
	v_add_f64 v[77:78], v[61:62], -v[77:78]
	v_add_f64 v[79:80], v[63:64], -v[79:80]
	v_add_f64 v[57:58], v[149:150], -v[57:58]
	v_add_f64 v[59:60], v[85:86], -v[59:60]
	v_add_f64 v[49:50], v[45:46], -v[49:50]
	v_add_f64 v[51:52], v[47:48], -v[51:52]
	v_fma_f64 v[41:42], v[41:42], 2.0, -v[73:74]
	v_fma_f64 v[43:44], v[43:44], 2.0, -v[75:76]
	;; [unrolled: 1-line block ×6, first 2 shown]
	v_add_f64 v[89:90], v[73:74], v[79:80]
	v_add_f64 v[91:92], v[75:76], -v[77:78]
	v_fma_f64 v[45:46], v[45:46], 2.0, -v[49:50]
	v_fma_f64 v[47:48], v[47:48], 2.0, -v[51:52]
	v_add_f64 v[77:78], v[57:58], v[51:52]
	v_add_f64 v[79:80], v[59:60], -v[49:50]
	v_add_f64 v[61:62], v[41:42], -v[61:62]
	;; [unrolled: 1-line block ×3, first 2 shown]
	v_fma_f64 v[93:94], v[73:74], 2.0, -v[89:90]
	v_fma_f64 v[95:96], v[75:76], 2.0, -v[91:92]
	v_add_f64 v[45:46], v[87:88], -v[45:46]
	v_add_f64 v[47:48], v[85:86], -v[47:48]
	v_fma_f64 v[51:52], v[57:58], 2.0, -v[77:78]
	v_fma_f64 v[49:50], v[59:60], 2.0, -v[79:80]
	v_fma_f64 v[97:98], v[77:78], s[4:5], v[89:90]
	v_fma_f64 v[99:100], v[79:80], s[4:5], v[91:92]
	v_fma_f64 v[73:74], v[41:42], 2.0, -v[61:62]
	v_fma_f64 v[75:76], v[43:44], 2.0, -v[63:64]
	;; [unrolled: 1-line block ×4, first 2 shown]
	v_fma_f64 v[85:86], v[51:52], s[0:1], v[93:94]
	v_fma_f64 v[87:88], v[49:50], s[0:1], v[95:96]
	v_add_f64 v[41:42], v[61:62], v[47:48]
	v_add_f64 v[43:44], v[63:64], -v[45:46]
	v_add_f64 v[45:46], v[73:74], -v[57:58]
	;; [unrolled: 1-line block ×3, first 2 shown]
	v_fma_f64 v[49:50], v[49:50], s[4:5], v[85:86]
	v_fma_f64 v[51:52], v[51:52], s[0:1], v[87:88]
	;; [unrolled: 1-line block ×4, first 2 shown]
	v_fma_f64 v[61:62], v[61:62], 2.0, -v[41:42]
	v_fma_f64 v[63:64], v[63:64], 2.0, -v[43:44]
	;; [unrolled: 1-line block ×8, first 2 shown]
	ds_write_b128 v0, v[73:76]
	ds_write_b128 v199, v[77:80] offset:1280
	ds_write_b128 v199, v[61:64] offset:2560
	;; [unrolled: 1-line block ×7, first 2 shown]
	s_and_saveexec_b32 s12, vcc_lo
	s_cbranch_execz .LBB0_21
; %bb.20:
	v_mul_f64 v[41:42], v[83:84], v[133:134]
	v_mul_f64 v[43:44], v[67:68], v[127:128]
	;; [unrolled: 1-line block ×14, first 2 shown]
	v_fma_f64 v[41:42], v[81:82], v[135:136], -v[41:42]
	v_fma_f64 v[43:44], v[65:66], v[125:126], v[43:44]
	v_fma_f64 v[45:46], v[113:114], v[137:138], v[45:46]
	v_fma_f64 v[39:40], v[53:54], v[39:40], -v[47:48]
	v_fma_f64 v[47:48], v[101:102], v[143:144], -v[49:50]
	v_fma_f64 v[49:50], v[69:70], v[129:130], v[51:52]
	v_fma_f64 v[51:52], v[117:118], v[145:146], v[57:58]
	;; [unrolled: 1-line block ×3, first 2 shown]
	v_fma_f64 v[53:54], v[65:66], v[127:128], -v[59:60]
	v_fma_f64 v[55:56], v[113:114], v[139:140], -v[61:62]
	v_fma_f64 v[57:58], v[101:102], v[141:142], v[63:64]
	v_fma_f64 v[59:60], v[81:82], v[133:134], v[67:68]
	v_fma_f64 v[61:62], v[69:70], v[131:132], -v[71:72]
	v_fma_f64 v[63:64], v[117:118], v[147:148], -v[73:74]
	v_add_f64 v[41:42], v[35:36], -v[41:42]
	v_add_f64 v[45:46], v[43:44], -v[45:46]
	;; [unrolled: 1-line block ×8, first 2 shown]
	v_fma_f64 v[35:36], v[35:36], 2.0, -v[41:42]
	v_add_f64 v[65:66], v[41:42], -v[45:46]
	v_fma_f64 v[43:44], v[43:44], 2.0, -v[45:46]
	v_fma_f64 v[39:40], v[39:40], 2.0, -v[47:48]
	v_add_f64 v[67:68], v[47:48], -v[51:52]
	v_fma_f64 v[49:50], v[49:50], 2.0, -v[51:52]
	v_fma_f64 v[53:54], v[53:54], 2.0, -v[55:56]
	;; [unrolled: 1-line block ×5, first 2 shown]
	v_add_f64 v[45:46], v[63:64], v[57:58]
	v_add_f64 v[61:62], v[55:56], v[59:60]
	v_fma_f64 v[63:64], v[41:42], 2.0, -v[65:66]
	v_fma_f64 v[41:42], v[47:48], 2.0, -v[67:68]
	v_add_f64 v[53:54], v[35:36], -v[53:54]
	v_add_f64 v[47:48], v[37:38], -v[49:50]
	;; [unrolled: 1-line block ×4, first 2 shown]
	v_fma_f64 v[43:44], v[57:58], 2.0, -v[45:46]
	v_fma_f64 v[57:58], v[59:60], 2.0, -v[61:62]
	v_fma_f64 v[51:52], v[67:68], s[4:5], v[65:66]
	v_fma_f64 v[55:56], v[45:46], s[4:5], v[61:62]
	;; [unrolled: 1-line block ×3, first 2 shown]
	v_fma_f64 v[71:72], v[35:36], 2.0, -v[53:54]
	v_fma_f64 v[77:78], v[37:38], 2.0, -v[47:48]
	;; [unrolled: 1-line block ×4, first 2 shown]
	v_add_f64 v[39:40], v[53:54], -v[47:48]
	v_fma_f64 v[79:80], v[43:44], s[0:1], v[57:58]
	v_add_f64 v[37:38], v[69:70], v[49:50]
	v_fma_f64 v[35:36], v[45:46], s[0:1], v[51:52]
	v_fma_f64 v[33:34], v[67:68], s[4:5], v[55:56]
	;; [unrolled: 1-line block ×3, first 2 shown]
	v_add_f64 v[45:46], v[75:76], -v[77:78]
	v_add_f64 v[47:48], v[71:72], -v[73:74]
	v_fma_f64 v[55:56], v[53:54], 2.0, -v[39:40]
	v_fma_f64 v[41:42], v[41:42], s[4:5], v[79:80]
	v_fma_f64 v[53:54], v[69:70], 2.0, -v[37:38]
	v_fma_f64 v[51:52], v[65:66], 2.0, -v[35:36]
	;; [unrolled: 1-line block ×7, first 2 shown]
	ds_write_b128 v199, v[37:40] offset:8704
	ds_write_b128 v199, v[53:56] offset:3584
	;; [unrolled: 1-line block ×8, first 2 shown]
.LBB0_21:
	s_or_b32 exec_lo, exec_lo, s12
	s_waitcnt lgkmcnt(0)
	s_barrier
	buffer_gl0_inv
	ds_read_b128 v[33:36], v0
	ds_read_b128 v[37:40], v199 offset:1280
	ds_read_b128 v[41:44], v199 offset:2560
	;; [unrolled: 1-line block ×3, first 2 shown]
	v_mad_u64_u32 v[65:66], null, s10, v193, 0
	v_mad_u64_u32 v[67:68], null, s8, v198, 0
	ds_read_b128 v[49:52], v199 offset:5120
	ds_read_b128 v[53:56], v199 offset:6400
	;; [unrolled: 1-line block ×4, first 2 shown]
	s_mul_i32 s0, s9, 0x50
	v_mov_b32_e32 v0, v66
	s_mul_hi_u32 s1, s8, 0x50
	v_mov_b32_e32 v66, v68
	s_add_i32 s13, s1, s0
	s_mov_b32 s4, 0x9999999a
	v_mad_u64_u32 v[73:74], null, s11, v193, v[0:1]
	v_mad_u64_u32 v[74:75], null, s9, v198, v[66:67]
	s_waitcnt lgkmcnt(7)
	v_mul_f64 v[69:70], v[11:12], v[35:36]
	v_mul_f64 v[11:12], v[11:12], v[33:34]
	s_waitcnt lgkmcnt(6)
	v_mul_f64 v[71:72], v[7:8], v[39:40]
	v_mul_f64 v[7:8], v[7:8], v[37:38]
	;; [unrolled: 3-line block ×6, first 2 shown]
	v_mov_b32_e32 v66, v73
	v_mov_b32_e32 v68, v74
	s_mov_b32 s5, 0x3f599999
	s_mul_i32 s12, s8, 0x50
	v_fma_f64 v[3:4], v[9:10], v[33:34], v[69:70]
	v_fma_f64 v[9:10], v[9:10], v[35:36], -v[11:12]
	s_waitcnt lgkmcnt(1)
	v_mul_f64 v[33:34], v[23:24], v[59:60]
	v_fma_f64 v[35:36], v[5:6], v[39:40], -v[7:8]
	v_mul_f64 v[23:24], v[23:24], v[57:58]
	v_fma_f64 v[11:12], v[5:6], v[37:38], v[71:72]
	s_waitcnt lgkmcnt(0)
	v_mul_f64 v[37:38], v[31:32], v[63:64]
	v_mul_f64 v[31:32], v[31:32], v[61:62]
	v_lshlrev_b64 v[5:6], 4, v[65:66]
	v_fma_f64 v[39:40], v[17:18], v[41:42], v[75:76]
	v_lshlrev_b64 v[7:8], 4, v[67:68]
	v_fma_f64 v[17:18], v[17:18], v[43:44], -v[19:20]
	v_fma_f64 v[43:44], v[13:14], v[47:48], -v[15:16]
	v_fma_f64 v[19:20], v[13:14], v[45:46], v[77:78]
	v_add_co_u32 v0, s0, s2, v5
	v_add_co_ci_u32_e64 v5, s0, s3, v6, s0
	v_fma_f64 v[45:46], v[25:26], v[53:54], v[83:84]
	v_add_co_u32 v41, s0, v0, v7
	v_add_co_ci_u32_e64 v42, s0, v5, v8, s0
	v_mul_f64 v[5:6], v[9:10], s[4:5]
	v_fma_f64 v[25:26], v[25:26], v[55:56], -v[27:28]
	v_mul_f64 v[9:10], v[35:36], s[4:5]
	v_fma_f64 v[35:36], v[1:2], v[49:50], v[79:80]
	v_fma_f64 v[0:1], v[1:2], v[51:52], -v[81:82]
	v_fma_f64 v[27:28], v[21:22], v[57:58], v[33:34]
	v_fma_f64 v[33:34], v[21:22], v[59:60], -v[23:24]
	;; [unrolled: 2-line block ×3, first 2 shown]
	s_lshl_b64 s[2:3], s[12:13], 4
	v_mul_f64 v[3:4], v[3:4], s[4:5]
	v_add_co_u32 v49, s0, v41, s2
	v_add_co_ci_u32_e64 v50, s0, s3, v42, s0
	v_mul_f64 v[7:8], v[11:12], s[4:5]
	v_mul_f64 v[11:12], v[39:40], s[4:5]
	v_add_co_u32 v39, s0, v49, s2
	v_add_co_ci_u32_e64 v40, s0, s3, v50, s0
	v_mul_f64 v[13:14], v[17:18], s[4:5]
	;; [unrolled: 4-line block ×3, first 2 shown]
	v_mul_f64 v[19:20], v[35:36], s[4:5]
	v_add_co_u32 v35, s0, v43, s2
	v_mul_f64 v[21:22], v[0:1], s[4:5]
	v_mul_f64 v[23:24], v[45:46], s[4:5]
	;; [unrolled: 1-line block ×3, first 2 shown]
	v_add_co_ci_u32_e64 v36, s0, s3, v44, s0
	v_mul_f64 v[27:28], v[27:28], s[4:5]
	v_mul_f64 v[29:30], v[33:34], s[4:5]
	;; [unrolled: 1-line block ×4, first 2 shown]
	v_add_co_u32 v2, s0, v35, s2
	global_store_dwordx4 v[41:42], v[3:6], off
	v_add_co_ci_u32_e64 v3, s0, s3, v36, s0
	v_add_co_u32 v4, s0, v2, s2
	global_store_dwordx4 v[49:50], v[7:10], off
	v_add_co_ci_u32_e64 v5, s0, s3, v3, s0
	;; [unrolled: 3-line block ×3, first 2 shown]
	global_store_dwordx4 v[43:44], v[15:18], off
	global_store_dwordx4 v[35:36], v[19:22], off
	;; [unrolled: 1-line block ×5, first 2 shown]
	s_and_b32 exec_lo, exec_lo, vcc_lo
	s_cbranch_execz .LBB0_23
; %bb.22:
	v_add_co_u32 v14, vcc_lo, 0x1000, v194
	global_load_dwordx4 v[2:5], v[194:195], off offset:1024
	v_add_co_ci_u32_e32 v15, vcc_lo, 0, v195, vcc_lo
	s_clause 0x2
	global_load_dwordx4 v[6:9], v[196:197], off offset:256
	global_load_dwordx4 v[10:13], v[196:197], off offset:1536
	global_load_dwordx4 v[14:17], v[14:15], off offset:768
	ds_read_b128 v[18:21], v199 offset:1024
	ds_read_b128 v[22:25], v199 offset:2304
	;; [unrolled: 1-line block ×4, first 2 shown]
	s_mul_i32 s0, s9, 0xffffe100
	s_sub_i32 s0, s0, s8
	s_waitcnt vmcnt(3) lgkmcnt(3)
	v_mul_f64 v[34:35], v[20:21], v[4:5]
	v_mul_f64 v[4:5], v[18:19], v[4:5]
	s_waitcnt vmcnt(2) lgkmcnt(2)
	v_mul_f64 v[36:37], v[24:25], v[8:9]
	v_mul_f64 v[8:9], v[22:23], v[8:9]
	;; [unrolled: 3-line block ×4, first 2 shown]
	v_fma_f64 v[18:19], v[18:19], v[2:3], v[34:35]
	v_fma_f64 v[2:3], v[2:3], v[20:21], -v[4:5]
	v_fma_f64 v[4:5], v[22:23], v[6:7], v[36:37]
	v_fma_f64 v[6:7], v[6:7], v[24:25], -v[8:9]
	;; [unrolled: 2-line block ×4, first 2 shown]
	v_mad_u64_u32 v[16:17], null, 0xffffe100, s8, v[0:1]
	v_add_nc_u32_e32 v17, s0, v17
	v_mul_f64 v[0:1], v[18:19], s[4:5]
	v_mul_f64 v[2:3], v[2:3], s[4:5]
	;; [unrolled: 1-line block ×8, first 2 shown]
	v_add_co_u32 v18, vcc_lo, v16, s2
	v_add_co_ci_u32_e32 v19, vcc_lo, s3, v17, vcc_lo
	v_add_co_u32 v20, vcc_lo, v18, s2
	v_add_co_ci_u32_e32 v21, vcc_lo, s3, v19, vcc_lo
	v_add_co_u32 v22, vcc_lo, v20, s2
	v_add_co_ci_u32_e32 v23, vcc_lo, s3, v21, vcc_lo
	global_store_dwordx4 v[16:17], v[0:3], off
	global_store_dwordx4 v[18:19], v[4:7], off
	;; [unrolled: 1-line block ×4, first 2 shown]
	global_load_dwordx4 v[0:3], v204, s[6:7]
	ds_read_b128 v[4:7], v199 offset:6144
	ds_read_b128 v[8:11], v199 offset:7424
	s_waitcnt vmcnt(0) lgkmcnt(1)
	v_mul_f64 v[12:13], v[6:7], v[2:3]
	v_mul_f64 v[2:3], v[4:5], v[2:3]
	v_fma_f64 v[4:5], v[4:5], v[0:1], v[12:13]
	v_fma_f64 v[2:3], v[0:1], v[6:7], -v[2:3]
	v_mul_f64 v[0:1], v[4:5], s[4:5]
	v_mul_f64 v[2:3], v[2:3], s[4:5]
	v_add_co_u32 v4, vcc_lo, v22, s2
	v_add_co_ci_u32_e32 v5, vcc_lo, s3, v23, vcc_lo
	v_add_co_u32 v12, vcc_lo, v4, s2
	v_add_co_ci_u32_e32 v13, vcc_lo, s3, v5, vcc_lo
	global_store_dwordx4 v[4:5], v[0:3], off
	global_load_dwordx4 v[0:3], v[191:192], off offset:1280
	s_waitcnt vmcnt(0) lgkmcnt(0)
	v_mul_f64 v[6:7], v[10:11], v[2:3]
	v_mul_f64 v[2:3], v[8:9], v[2:3]
	v_fma_f64 v[6:7], v[8:9], v[0:1], v[6:7]
	v_fma_f64 v[2:3], v[0:1], v[10:11], -v[2:3]
	v_mul_f64 v[0:1], v[6:7], s[4:5]
	v_mul_f64 v[2:3], v[2:3], s[4:5]
	global_store_dwordx4 v[12:13], v[0:3], off
	global_load_dwordx4 v[0:3], v[189:190], off offset:512
	ds_read_b128 v[4:7], v199 offset:8704
	ds_read_b128 v[8:11], v199 offset:9984
	s_waitcnt vmcnt(0) lgkmcnt(1)
	v_mul_f64 v[14:15], v[6:7], v[2:3]
	v_mul_f64 v[2:3], v[4:5], v[2:3]
	v_fma_f64 v[4:5], v[4:5], v[0:1], v[14:15]
	v_fma_f64 v[2:3], v[0:1], v[6:7], -v[2:3]
	v_mul_f64 v[0:1], v[4:5], s[4:5]
	v_mul_f64 v[2:3], v[2:3], s[4:5]
	v_add_co_u32 v4, vcc_lo, v12, s2
	v_add_co_ci_u32_e32 v5, vcc_lo, s3, v13, vcc_lo
	global_store_dwordx4 v[4:5], v[0:3], off
	global_load_dwordx4 v[0:3], v[189:190], off offset:1792
	v_add_co_u32 v4, vcc_lo, v4, s2
	v_add_co_ci_u32_e32 v5, vcc_lo, s3, v5, vcc_lo
	s_waitcnt vmcnt(0) lgkmcnt(0)
	v_mul_f64 v[6:7], v[10:11], v[2:3]
	v_mul_f64 v[2:3], v[8:9], v[2:3]
	v_fma_f64 v[6:7], v[8:9], v[0:1], v[6:7]
	v_fma_f64 v[2:3], v[0:1], v[10:11], -v[2:3]
	v_mul_f64 v[0:1], v[6:7], s[4:5]
	v_mul_f64 v[2:3], v[2:3], s[4:5]
	global_store_dwordx4 v[4:5], v[0:3], off
.LBB0_23:
	s_endpgm
	.section	.rodata,"a",@progbits
	.p2align	6, 0x0
	.amdhsa_kernel bluestein_single_back_len640_dim1_dp_op_CI_CI
		.amdhsa_group_segment_fixed_size 20480
		.amdhsa_private_segment_fixed_size 0
		.amdhsa_kernarg_size 104
		.amdhsa_user_sgpr_count 6
		.amdhsa_user_sgpr_private_segment_buffer 1
		.amdhsa_user_sgpr_dispatch_ptr 0
		.amdhsa_user_sgpr_queue_ptr 0
		.amdhsa_user_sgpr_kernarg_segment_ptr 1
		.amdhsa_user_sgpr_dispatch_id 0
		.amdhsa_user_sgpr_flat_scratch_init 0
		.amdhsa_user_sgpr_private_segment_size 0
		.amdhsa_wavefront_size32 1
		.amdhsa_uses_dynamic_stack 0
		.amdhsa_system_sgpr_private_segment_wavefront_offset 0
		.amdhsa_system_sgpr_workgroup_id_x 1
		.amdhsa_system_sgpr_workgroup_id_y 0
		.amdhsa_system_sgpr_workgroup_id_z 0
		.amdhsa_system_sgpr_workgroup_info 0
		.amdhsa_system_vgpr_workitem_id 0
		.amdhsa_next_free_vgpr 255
		.amdhsa_next_free_sgpr 24
		.amdhsa_reserve_vcc 1
		.amdhsa_reserve_flat_scratch 0
		.amdhsa_float_round_mode_32 0
		.amdhsa_float_round_mode_16_64 0
		.amdhsa_float_denorm_mode_32 3
		.amdhsa_float_denorm_mode_16_64 3
		.amdhsa_dx10_clamp 1
		.amdhsa_ieee_mode 1
		.amdhsa_fp16_overflow 0
		.amdhsa_workgroup_processor_mode 1
		.amdhsa_memory_ordered 1
		.amdhsa_forward_progress 0
		.amdhsa_shared_vgpr_count 0
		.amdhsa_exception_fp_ieee_invalid_op 0
		.amdhsa_exception_fp_denorm_src 0
		.amdhsa_exception_fp_ieee_div_zero 0
		.amdhsa_exception_fp_ieee_overflow 0
		.amdhsa_exception_fp_ieee_underflow 0
		.amdhsa_exception_fp_ieee_inexact 0
		.amdhsa_exception_int_div_zero 0
	.end_amdhsa_kernel
	.text
.Lfunc_end0:
	.size	bluestein_single_back_len640_dim1_dp_op_CI_CI, .Lfunc_end0-bluestein_single_back_len640_dim1_dp_op_CI_CI
                                        ; -- End function
	.section	.AMDGPU.csdata,"",@progbits
; Kernel info:
; codeLenInByte = 13876
; NumSgprs: 26
; NumVgprs: 255
; ScratchSize: 0
; MemoryBound: 0
; FloatMode: 240
; IeeeMode: 1
; LDSByteSize: 20480 bytes/workgroup (compile time only)
; SGPRBlocks: 3
; VGPRBlocks: 31
; NumSGPRsForWavesPerEU: 26
; NumVGPRsForWavesPerEU: 255
; Occupancy: 4
; WaveLimiterHint : 1
; COMPUTE_PGM_RSRC2:SCRATCH_EN: 0
; COMPUTE_PGM_RSRC2:USER_SGPR: 6
; COMPUTE_PGM_RSRC2:TRAP_HANDLER: 0
; COMPUTE_PGM_RSRC2:TGID_X_EN: 1
; COMPUTE_PGM_RSRC2:TGID_Y_EN: 0
; COMPUTE_PGM_RSRC2:TGID_Z_EN: 0
; COMPUTE_PGM_RSRC2:TIDIG_COMP_CNT: 0
	.text
	.p2alignl 6, 3214868480
	.fill 48, 4, 3214868480
	.type	__hip_cuid_a67028c0878fb67,@object ; @__hip_cuid_a67028c0878fb67
	.section	.bss,"aw",@nobits
	.globl	__hip_cuid_a67028c0878fb67
__hip_cuid_a67028c0878fb67:
	.byte	0                               ; 0x0
	.size	__hip_cuid_a67028c0878fb67, 1

	.ident	"AMD clang version 19.0.0git (https://github.com/RadeonOpenCompute/llvm-project roc-6.4.0 25133 c7fe45cf4b819c5991fe208aaa96edf142730f1d)"
	.section	".note.GNU-stack","",@progbits
	.addrsig
	.addrsig_sym __hip_cuid_a67028c0878fb67
	.amdgpu_metadata
---
amdhsa.kernels:
  - .args:
      - .actual_access:  read_only
        .address_space:  global
        .offset:         0
        .size:           8
        .value_kind:     global_buffer
      - .actual_access:  read_only
        .address_space:  global
        .offset:         8
        .size:           8
        .value_kind:     global_buffer
      - .actual_access:  read_only
        .address_space:  global
        .offset:         16
        .size:           8
        .value_kind:     global_buffer
      - .actual_access:  read_only
        .address_space:  global
        .offset:         24
        .size:           8
        .value_kind:     global_buffer
      - .actual_access:  read_only
        .address_space:  global
        .offset:         32
        .size:           8
        .value_kind:     global_buffer
      - .offset:         40
        .size:           8
        .value_kind:     by_value
      - .address_space:  global
        .offset:         48
        .size:           8
        .value_kind:     global_buffer
      - .address_space:  global
        .offset:         56
        .size:           8
        .value_kind:     global_buffer
      - .address_space:  global
        .offset:         64
        .size:           8
        .value_kind:     global_buffer
      - .address_space:  global
        .offset:         72
        .size:           8
        .value_kind:     global_buffer
      - .offset:         80
        .size:           4
        .value_kind:     by_value
      - .address_space:  global
        .offset:         88
        .size:           8
        .value_kind:     global_buffer
      - .address_space:  global
        .offset:         96
        .size:           8
        .value_kind:     global_buffer
    .group_segment_fixed_size: 20480
    .kernarg_segment_align: 8
    .kernarg_segment_size: 104
    .language:       OpenCL C
    .language_version:
      - 2
      - 0
    .max_flat_workgroup_size: 128
    .name:           bluestein_single_back_len640_dim1_dp_op_CI_CI
    .private_segment_fixed_size: 0
    .sgpr_count:     26
    .sgpr_spill_count: 0
    .symbol:         bluestein_single_back_len640_dim1_dp_op_CI_CI.kd
    .uniform_work_group_size: 1
    .uses_dynamic_stack: false
    .vgpr_count:     255
    .vgpr_spill_count: 0
    .wavefront_size: 32
    .workgroup_processor_mode: 1
amdhsa.target:   amdgcn-amd-amdhsa--gfx1030
amdhsa.version:
  - 1
  - 2
...

	.end_amdgpu_metadata
